;; amdgpu-corpus repo=ROCm/rocFFT kind=compiled arch=gfx1030 opt=O3
	.text
	.amdgcn_target "amdgcn-amd-amdhsa--gfx1030"
	.amdhsa_code_object_version 6
	.protected	fft_rtc_back_len702_factors_13_3_6_3_wgs_117_tpt_117_halfLds_dp_ip_CI_unitstride_sbrr_C2R_dirReg ; -- Begin function fft_rtc_back_len702_factors_13_3_6_3_wgs_117_tpt_117_halfLds_dp_ip_CI_unitstride_sbrr_C2R_dirReg
	.globl	fft_rtc_back_len702_factors_13_3_6_3_wgs_117_tpt_117_halfLds_dp_ip_CI_unitstride_sbrr_C2R_dirReg
	.p2align	8
	.type	fft_rtc_back_len702_factors_13_3_6_3_wgs_117_tpt_117_halfLds_dp_ip_CI_unitstride_sbrr_C2R_dirReg,@function
fft_rtc_back_len702_factors_13_3_6_3_wgs_117_tpt_117_halfLds_dp_ip_CI_unitstride_sbrr_C2R_dirReg: ; @fft_rtc_back_len702_factors_13_3_6_3_wgs_117_tpt_117_halfLds_dp_ip_CI_unitstride_sbrr_C2R_dirReg
; %bb.0:
	s_clause 0x2
	s_load_dwordx4 s[8:11], s[4:5], 0x0
	s_load_dwordx2 s[2:3], s[4:5], 0x50
	s_load_dwordx2 s[12:13], s[4:5], 0x18
	v_mul_u32_u24_e32 v1, 0x231, v0
	v_mov_b32_e32 v3, 0
	v_add_nc_u32_sdwa v5, s6, v1 dst_sel:DWORD dst_unused:UNUSED_PAD src0_sel:DWORD src1_sel:WORD_1
	v_mov_b32_e32 v1, 0
	v_mov_b32_e32 v6, v3
	v_mov_b32_e32 v2, 0
	s_waitcnt lgkmcnt(0)
	v_cmp_lt_u64_e64 s0, s[10:11], 2
	s_and_b32 vcc_lo, exec_lo, s0
	s_cbranch_vccnz .LBB0_8
; %bb.1:
	s_load_dwordx2 s[0:1], s[4:5], 0x10
	v_mov_b32_e32 v1, 0
	s_add_u32 s6, s12, 8
	v_mov_b32_e32 v2, 0
	s_addc_u32 s7, s13, 0
	s_mov_b64 s[16:17], 1
	s_waitcnt lgkmcnt(0)
	s_add_u32 s14, s0, 8
	s_addc_u32 s15, s1, 0
.LBB0_2:                                ; =>This Inner Loop Header: Depth=1
	s_load_dwordx2 s[18:19], s[14:15], 0x0
                                        ; implicit-def: $vgpr7_vgpr8
	s_mov_b32 s0, exec_lo
	s_waitcnt lgkmcnt(0)
	v_or_b32_e32 v4, s19, v6
	v_cmpx_ne_u64_e32 0, v[3:4]
	s_xor_b32 s1, exec_lo, s0
	s_cbranch_execz .LBB0_4
; %bb.3:                                ;   in Loop: Header=BB0_2 Depth=1
	v_cvt_f32_u32_e32 v4, s18
	v_cvt_f32_u32_e32 v7, s19
	s_sub_u32 s0, 0, s18
	s_subb_u32 s20, 0, s19
	v_fmac_f32_e32 v4, 0x4f800000, v7
	v_rcp_f32_e32 v4, v4
	v_mul_f32_e32 v4, 0x5f7ffffc, v4
	v_mul_f32_e32 v7, 0x2f800000, v4
	v_trunc_f32_e32 v7, v7
	v_fmac_f32_e32 v4, 0xcf800000, v7
	v_cvt_u32_f32_e32 v7, v7
	v_cvt_u32_f32_e32 v4, v4
	v_mul_lo_u32 v8, s0, v7
	v_mul_hi_u32 v9, s0, v4
	v_mul_lo_u32 v10, s20, v4
	v_add_nc_u32_e32 v8, v9, v8
	v_mul_lo_u32 v9, s0, v4
	v_add_nc_u32_e32 v8, v8, v10
	v_mul_hi_u32 v10, v4, v9
	v_mul_lo_u32 v11, v4, v8
	v_mul_hi_u32 v12, v4, v8
	v_mul_hi_u32 v13, v7, v9
	v_mul_lo_u32 v9, v7, v9
	v_mul_hi_u32 v14, v7, v8
	v_mul_lo_u32 v8, v7, v8
	v_add_co_u32 v10, vcc_lo, v10, v11
	v_add_co_ci_u32_e32 v11, vcc_lo, 0, v12, vcc_lo
	v_add_co_u32 v9, vcc_lo, v10, v9
	v_add_co_ci_u32_e32 v9, vcc_lo, v11, v13, vcc_lo
	v_add_co_ci_u32_e32 v10, vcc_lo, 0, v14, vcc_lo
	v_add_co_u32 v8, vcc_lo, v9, v8
	v_add_co_ci_u32_e32 v9, vcc_lo, 0, v10, vcc_lo
	v_add_co_u32 v4, vcc_lo, v4, v8
	v_add_co_ci_u32_e32 v7, vcc_lo, v7, v9, vcc_lo
	v_mul_hi_u32 v8, s0, v4
	v_mul_lo_u32 v10, s20, v4
	v_mul_lo_u32 v9, s0, v7
	v_add_nc_u32_e32 v8, v8, v9
	v_mul_lo_u32 v9, s0, v4
	v_add_nc_u32_e32 v8, v8, v10
	v_mul_hi_u32 v10, v4, v9
	v_mul_lo_u32 v11, v4, v8
	v_mul_hi_u32 v12, v4, v8
	v_mul_hi_u32 v13, v7, v9
	v_mul_lo_u32 v9, v7, v9
	v_mul_hi_u32 v14, v7, v8
	v_mul_lo_u32 v8, v7, v8
	v_add_co_u32 v10, vcc_lo, v10, v11
	v_add_co_ci_u32_e32 v11, vcc_lo, 0, v12, vcc_lo
	v_add_co_u32 v9, vcc_lo, v10, v9
	v_add_co_ci_u32_e32 v9, vcc_lo, v11, v13, vcc_lo
	v_add_co_ci_u32_e32 v10, vcc_lo, 0, v14, vcc_lo
	v_add_co_u32 v8, vcc_lo, v9, v8
	v_add_co_ci_u32_e32 v9, vcc_lo, 0, v10, vcc_lo
	v_add_co_u32 v4, vcc_lo, v4, v8
	v_add_co_ci_u32_e32 v11, vcc_lo, v7, v9, vcc_lo
	v_mul_hi_u32 v13, v5, v4
	v_mad_u64_u32 v[9:10], null, v6, v4, 0
	v_mad_u64_u32 v[7:8], null, v5, v11, 0
	;; [unrolled: 1-line block ×3, first 2 shown]
	v_add_co_u32 v4, vcc_lo, v13, v7
	v_add_co_ci_u32_e32 v7, vcc_lo, 0, v8, vcc_lo
	v_add_co_u32 v4, vcc_lo, v4, v9
	v_add_co_ci_u32_e32 v4, vcc_lo, v7, v10, vcc_lo
	v_add_co_ci_u32_e32 v7, vcc_lo, 0, v12, vcc_lo
	v_add_co_u32 v4, vcc_lo, v4, v11
	v_add_co_ci_u32_e32 v9, vcc_lo, 0, v7, vcc_lo
	v_mul_lo_u32 v10, s19, v4
	v_mad_u64_u32 v[7:8], null, s18, v4, 0
	v_mul_lo_u32 v11, s18, v9
	v_sub_co_u32 v7, vcc_lo, v5, v7
	v_add3_u32 v8, v8, v11, v10
	v_sub_nc_u32_e32 v10, v6, v8
	v_subrev_co_ci_u32_e64 v10, s0, s19, v10, vcc_lo
	v_add_co_u32 v11, s0, v4, 2
	v_add_co_ci_u32_e64 v12, s0, 0, v9, s0
	v_sub_co_u32 v13, s0, v7, s18
	v_sub_co_ci_u32_e32 v8, vcc_lo, v6, v8, vcc_lo
	v_subrev_co_ci_u32_e64 v10, s0, 0, v10, s0
	v_cmp_le_u32_e32 vcc_lo, s18, v13
	v_cmp_eq_u32_e64 s0, s19, v8
	v_cndmask_b32_e64 v13, 0, -1, vcc_lo
	v_cmp_le_u32_e32 vcc_lo, s19, v10
	v_cndmask_b32_e64 v14, 0, -1, vcc_lo
	v_cmp_le_u32_e32 vcc_lo, s18, v7
	;; [unrolled: 2-line block ×3, first 2 shown]
	v_cndmask_b32_e64 v15, 0, -1, vcc_lo
	v_cmp_eq_u32_e32 vcc_lo, s19, v10
	v_cndmask_b32_e64 v7, v15, v7, s0
	v_cndmask_b32_e32 v10, v14, v13, vcc_lo
	v_add_co_u32 v13, vcc_lo, v4, 1
	v_add_co_ci_u32_e32 v14, vcc_lo, 0, v9, vcc_lo
	v_cmp_ne_u32_e32 vcc_lo, 0, v10
	v_cndmask_b32_e32 v8, v14, v12, vcc_lo
	v_cndmask_b32_e32 v10, v13, v11, vcc_lo
	v_cmp_ne_u32_e32 vcc_lo, 0, v7
	v_cndmask_b32_e32 v8, v9, v8, vcc_lo
	v_cndmask_b32_e32 v7, v4, v10, vcc_lo
.LBB0_4:                                ;   in Loop: Header=BB0_2 Depth=1
	s_andn2_saveexec_b32 s0, s1
	s_cbranch_execz .LBB0_6
; %bb.5:                                ;   in Loop: Header=BB0_2 Depth=1
	v_cvt_f32_u32_e32 v4, s18
	s_sub_i32 s1, 0, s18
	v_rcp_iflag_f32_e32 v4, v4
	v_mul_f32_e32 v4, 0x4f7ffffe, v4
	v_cvt_u32_f32_e32 v4, v4
	v_mul_lo_u32 v7, s1, v4
	v_mul_hi_u32 v7, v4, v7
	v_add_nc_u32_e32 v4, v4, v7
	v_mul_hi_u32 v4, v5, v4
	v_mul_lo_u32 v7, v4, s18
	v_add_nc_u32_e32 v8, 1, v4
	v_sub_nc_u32_e32 v7, v5, v7
	v_subrev_nc_u32_e32 v9, s18, v7
	v_cmp_le_u32_e32 vcc_lo, s18, v7
	v_cndmask_b32_e32 v7, v7, v9, vcc_lo
	v_cndmask_b32_e32 v4, v4, v8, vcc_lo
	v_cmp_le_u32_e32 vcc_lo, s18, v7
	v_add_nc_u32_e32 v8, 1, v4
	v_cndmask_b32_e32 v7, v4, v8, vcc_lo
	v_mov_b32_e32 v8, v3
.LBB0_6:                                ;   in Loop: Header=BB0_2 Depth=1
	s_or_b32 exec_lo, exec_lo, s0
	s_load_dwordx2 s[0:1], s[6:7], 0x0
	v_mul_lo_u32 v4, v8, s18
	v_mul_lo_u32 v11, v7, s19
	v_mad_u64_u32 v[9:10], null, v7, s18, 0
	s_add_u32 s16, s16, 1
	s_addc_u32 s17, s17, 0
	s_add_u32 s6, s6, 8
	s_addc_u32 s7, s7, 0
	;; [unrolled: 2-line block ×3, first 2 shown]
	v_add3_u32 v4, v10, v11, v4
	v_sub_co_u32 v5, vcc_lo, v5, v9
	v_sub_co_ci_u32_e32 v4, vcc_lo, v6, v4, vcc_lo
	s_waitcnt lgkmcnt(0)
	v_mul_lo_u32 v6, s1, v5
	v_mul_lo_u32 v4, s0, v4
	v_mad_u64_u32 v[1:2], null, s0, v5, v[1:2]
	v_cmp_ge_u64_e64 s0, s[16:17], s[10:11]
	s_and_b32 vcc_lo, exec_lo, s0
	v_add3_u32 v2, v6, v2, v4
	s_cbranch_vccnz .LBB0_9
; %bb.7:                                ;   in Loop: Header=BB0_2 Depth=1
	v_mov_b32_e32 v5, v7
	v_mov_b32_e32 v6, v8
	s_branch .LBB0_2
.LBB0_8:
	v_mov_b32_e32 v8, v6
	v_mov_b32_e32 v7, v5
.LBB0_9:
	s_lshl_b64 s[0:1], s[10:11], 3
	v_mul_hi_u32 v5, 0x2302303, v0
	s_add_u32 s0, s12, s0
	s_addc_u32 s1, s13, s1
	s_load_dwordx2 s[0:1], s[0:1], 0x0
	s_load_dwordx2 s[4:5], s[4:5], 0x20
	s_waitcnt lgkmcnt(0)
	v_mul_lo_u32 v3, s0, v8
	v_mul_lo_u32 v4, s1, v7
	v_mad_u64_u32 v[1:2], null, s0, v7, v[1:2]
	v_cmp_gt_u64_e32 vcc_lo, s[4:5], v[7:8]
	v_add3_u32 v2, v4, v2, v3
	v_mul_u32_u24_e32 v3, 0x75, v5
	v_lshlrev_b64 v[54:55], 4, v[1:2]
	v_sub_nc_u32_e32 v52, v0, v3
	s_and_saveexec_b32 s1, vcc_lo
	s_cbranch_execz .LBB0_13
; %bb.10:
	v_mov_b32_e32 v53, 0
	v_add_co_u32 v0, s0, s2, v54
	v_add_co_ci_u32_e64 v1, s0, s3, v55, s0
	v_lshlrev_b64 v[2:3], 4, v[52:53]
	v_lshl_add_u32 v26, v52, 4, 0
	s_mov_b32 s4, exec_lo
	v_add_co_u32 v6, s0, v0, v2
	v_add_co_ci_u32_e64 v7, s0, v1, v3, s0
	v_add_co_u32 v10, s0, 0x800, v6
	v_add_co_ci_u32_e64 v11, s0, 0, v7, s0
	;; [unrolled: 2-line block ×5, first 2 shown]
	s_clause 0x5
	global_load_dwordx4 v[2:5], v[6:7], off
	global_load_dwordx4 v[6:9], v[6:7], off offset:1872
	global_load_dwordx4 v[10:13], v[10:11], off offset:1696
	;; [unrolled: 1-line block ×5, first 2 shown]
	s_waitcnt vmcnt(5)
	ds_write_b128 v26, v[2:5]
	s_waitcnt vmcnt(4)
	ds_write_b128 v26, v[6:9] offset:1872
	s_waitcnt vmcnt(3)
	ds_write_b128 v26, v[10:13] offset:3744
	;; [unrolled: 2-line block ×5, first 2 shown]
	v_cmpx_eq_u32_e32 0x74, v52
	s_cbranch_execz .LBB0_12
; %bb.11:
	v_add_co_u32 v0, s0, 0x2800, v0
	v_add_co_ci_u32_e64 v1, s0, 0, v1, s0
	v_mov_b32_e32 v52, 0x74
	global_load_dwordx4 v[0:3], v[0:1], off offset:992
	s_waitcnt vmcnt(0)
	ds_write_b128 v53, v[0:3] offset:11232
.LBB0_12:
	s_or_b32 exec_lo, exec_lo, s4
.LBB0_13:
	s_or_b32 exec_lo, exec_lo, s1
	v_lshlrev_b32_e32 v0, 4, v52
	s_waitcnt lgkmcnt(0)
	s_barrier
	buffer_gl0_inv
	s_add_u32 s1, s8, 0x2b10
	v_add_nc_u32_e32 v84, 0, v0
	v_sub_nc_u32_e32 v10, 0, v0
	s_addc_u32 s4, s9, 0
	s_mov_b32 s5, exec_lo
                                        ; implicit-def: $vgpr4_vgpr5
	ds_read_b64 v[6:7], v84
	ds_read_b64 v[8:9], v10 offset:11232
	s_waitcnt lgkmcnt(0)
	v_add_f64 v[0:1], v[6:7], v[8:9]
	v_add_f64 v[2:3], v[6:7], -v[8:9]
	v_cmpx_ne_u32_e32 0, v52
	s_xor_b32 s5, exec_lo, s5
	s_cbranch_execz .LBB0_15
; %bb.14:
	v_mov_b32_e32 v53, 0
	v_add_f64 v[13:14], v[6:7], v[8:9]
	v_add_f64 v[15:16], v[6:7], -v[8:9]
	v_lshlrev_b64 v[0:1], 4, v[52:53]
	v_add_co_u32 v0, s0, s1, v0
	v_add_co_ci_u32_e64 v1, s0, s4, v1, s0
	global_load_dwordx4 v[2:5], v[0:1], off
	ds_read_b64 v[0:1], v10 offset:11240
	ds_read_b64 v[11:12], v84 offset:8
	s_waitcnt lgkmcnt(0)
	v_add_f64 v[6:7], v[0:1], v[11:12]
	v_add_f64 v[0:1], v[11:12], -v[0:1]
	s_waitcnt vmcnt(0)
	v_fma_f64 v[8:9], v[15:16], v[4:5], v[13:14]
	v_fma_f64 v[11:12], -v[15:16], v[4:5], v[13:14]
	v_fma_f64 v[13:14], v[6:7], v[4:5], -v[0:1]
	v_fma_f64 v[4:5], v[6:7], v[4:5], v[0:1]
	v_fma_f64 v[0:1], -v[6:7], v[2:3], v[8:9]
	v_fma_f64 v[6:7], v[6:7], v[2:3], v[11:12]
	v_fma_f64 v[8:9], v[15:16], v[2:3], v[13:14]
	;; [unrolled: 1-line block ×3, first 2 shown]
	v_mov_b32_e32 v4, v52
	v_mov_b32_e32 v5, v53
	ds_write_b128 v10, v[6:9] offset:11232
.LBB0_15:
	s_andn2_saveexec_b32 s0, s5
	s_cbranch_execz .LBB0_17
; %bb.16:
	v_mov_b32_e32 v8, 0
	ds_read_b128 v[4:7], v8 offset:5616
	s_waitcnt lgkmcnt(0)
	v_add_f64 v[11:12], v[4:5], v[4:5]
	v_mul_f64 v[13:14], v[6:7], -2.0
	v_mov_b32_e32 v4, 0
	v_mov_b32_e32 v5, 0
	ds_write_b128 v8, v[11:14] offset:5616
.LBB0_17:
	s_or_b32 exec_lo, exec_lo, s0
	v_lshlrev_b64 v[4:5], 4, v[4:5]
	ds_write_b128 v84, v[0:3]
	s_mov_b32 s33, exec_lo
	v_add_co_u32 v8, s0, s1, v4
	v_add_co_ci_u32_e64 v9, s0, s4, v5, s0
	global_load_dwordx4 v[4:7], v[8:9], off offset:1872
	v_add_co_u32 v8, s0, 0x800, v8
	v_add_co_ci_u32_e64 v9, s0, 0, v9, s0
	global_load_dwordx4 v[11:14], v[8:9], off offset:1696
	ds_read_b128 v[0:3], v84 offset:1872
	ds_read_b128 v[15:18], v10 offset:9360
	s_waitcnt lgkmcnt(0)
	v_add_f64 v[8:9], v[0:1], v[15:16]
	v_add_f64 v[19:20], v[17:18], v[2:3]
	v_add_f64 v[15:16], v[0:1], -v[15:16]
	v_add_f64 v[0:1], v[2:3], -v[17:18]
	s_waitcnt vmcnt(1)
	v_fma_f64 v[2:3], v[15:16], v[6:7], v[8:9]
	v_fma_f64 v[17:18], v[19:20], v[6:7], v[0:1]
	v_fma_f64 v[8:9], -v[15:16], v[6:7], v[8:9]
	v_fma_f64 v[21:22], v[19:20], v[6:7], -v[0:1]
	v_fma_f64 v[0:1], -v[19:20], v[4:5], v[2:3]
	v_fma_f64 v[2:3], v[15:16], v[4:5], v[17:18]
	v_fma_f64 v[6:7], v[19:20], v[4:5], v[8:9]
	;; [unrolled: 1-line block ×3, first 2 shown]
	ds_write_b128 v84, v[0:3] offset:1872
	ds_write_b128 v10, v[6:9] offset:9360
	ds_read_b128 v[0:3], v84 offset:3744
	ds_read_b128 v[4:7], v10 offset:7488
	s_waitcnt lgkmcnt(0)
	v_add_f64 v[8:9], v[0:1], v[4:5]
	v_add_f64 v[15:16], v[6:7], v[2:3]
	v_add_f64 v[17:18], v[0:1], -v[4:5]
	v_add_f64 v[0:1], v[2:3], -v[6:7]
	s_waitcnt vmcnt(0)
	v_fma_f64 v[2:3], v[17:18], v[13:14], v[8:9]
	v_fma_f64 v[4:5], v[15:16], v[13:14], v[0:1]
	v_fma_f64 v[6:7], -v[17:18], v[13:14], v[8:9]
	v_fma_f64 v[8:9], v[15:16], v[13:14], -v[0:1]
	v_fma_f64 v[0:1], -v[15:16], v[11:12], v[2:3]
	v_fma_f64 v[2:3], v[17:18], v[11:12], v[4:5]
	v_fma_f64 v[4:5], v[15:16], v[11:12], v[6:7]
	;; [unrolled: 1-line block ×3, first 2 shown]
	ds_write_b128 v84, v[0:3] offset:3744
	ds_write_b128 v10, v[4:7] offset:7488
	s_waitcnt lgkmcnt(0)
	s_barrier
	buffer_gl0_inv
	s_barrier
	buffer_gl0_inv
	ds_read_b128 v[12:15], v84
	ds_read_b128 v[36:39], v84 offset:864
	ds_read_b128 v[40:43], v84 offset:1728
	;; [unrolled: 1-line block ×12, first 2 shown]
	s_waitcnt lgkmcnt(0)
	s_barrier
	buffer_gl0_inv
	v_cmpx_gt_u32_e32 54, v52
	s_cbranch_execz .LBB0_19
; %bb.18:
	v_add_f64 v[56:57], v[14:15], v[38:39]
	v_add_f64 v[58:59], v[12:13], v[36:37]
	v_add_f64 v[74:75], v[32:33], -v[20:21]
	v_add_f64 v[62:63], v[34:35], v[22:23]
	v_add_f64 v[60:61], v[32:33], v[20:21]
	v_add_f64 v[72:73], v[34:35], -v[22:23]
	v_add_f64 v[89:90], v[36:37], -v[0:1]
	s_mov_b32 s4, 0x4bc48dbf
	v_add_f64 v[66:67], v[28:29], -v[24:25]
	v_add_f64 v[64:65], v[30:31], -v[26:27]
	;; [unrolled: 1-line block ×3, first 2 shown]
	v_add_f64 v[70:71], v[50:51], v[18:19]
	v_add_f64 v[68:69], v[48:49], v[16:17]
	v_add_f64 v[78:79], v[50:51], -v[18:19]
	v_add_f64 v[82:83], v[44:45], -v[8:9]
	v_add_f64 v[76:77], v[46:47], v[10:11]
	s_mov_b32 s5, 0xbfcea1e5
	v_add_f64 v[91:92], v[38:39], v[2:3]
	v_add_f64 v[38:39], v[38:39], -v[2:3]
	s_mov_b32 s31, 0x3fddbe06
	s_mov_b32 s30, 0x4267c47c
	;; [unrolled: 1-line block ×3, first 2 shown]
	v_add_f64 v[56:57], v[56:57], v[42:43]
	v_add_f64 v[58:59], v[58:59], v[40:41]
	s_mov_b32 s10, 0x42a4c3d2
	s_mov_b32 s12, 0x2ef20147
	;; [unrolled: 1-line block ×13, first 2 shown]
	v_mul_f64 v[97:98], v[74:75], s[30:31]
	v_mul_f64 v[99:100], v[72:73], s[30:31]
	;; [unrolled: 1-line block ×5, first 2 shown]
	v_add_f64 v[36:37], v[36:37], v[0:1]
	v_mul_f64 v[95:96], v[89:90], s[6:7]
	v_add_f64 v[85:86], v[56:57], v[46:47]
	v_add_f64 v[87:88], v[58:59], v[44:45]
	;; [unrolled: 1-line block ×4, first 2 shown]
	v_mul_f64 v[101:102], v[89:90], s[12:13]
	v_mul_f64 v[107:108], v[89:90], s[18:19]
	;; [unrolled: 1-line block ×8, first 2 shown]
	s_mov_b32 s0, 0xe00740e9
	s_mov_b32 s22, 0xd0032e0c
	s_mov_b32 s24, 0x1ea71119
	s_mov_b32 s26, 0xb2365da1
	s_mov_b32 s28, 0xebaa3ed8
	s_mov_b32 s1, 0x3fec55a7
	s_mov_b32 s23, 0xbfe7f3cc
	s_mov_b32 s25, 0x3fe22d96
	s_mov_b32 s27, 0xbfd6b1d8
	s_mov_b32 s29, 0x3fbedb7d
	v_add_f64 v[85:86], v[85:86], v[50:51]
	v_add_f64 v[87:88], v[87:88], v[48:49]
	v_add_f64 v[48:49], v[46:47], -v[10:11]
	v_add_f64 v[50:51], v[40:41], -v[4:5]
	v_add_f64 v[46:47], v[42:43], v[6:7]
	v_add_f64 v[42:43], v[42:43], -v[6:7]
	v_add_f64 v[40:41], v[40:41], v[4:5]
	v_mul_f64 v[125:126], v[82:83], s[6:7]
	v_fma_f64 v[127:128], v[91:92], s[26:27], v[101:102]
	v_fma_f64 v[101:102], v[91:92], s[26:27], -v[101:102]
	v_fma_f64 v[129:130], v[36:37], s[20:21], -v[109:110]
	v_fma_f64 v[131:132], v[91:92], s[28:29], v[107:108]
	v_fma_f64 v[109:110], v[36:37], s[20:21], v[109:110]
	v_fma_f64 v[107:108], v[91:92], s[28:29], -v[107:108]
	v_fma_f64 v[133:134], v[36:37], s[22:23], -v[115:116]
	v_fma_f64 v[135:136], v[91:92], s[24:25], v[117:118]
	;; [unrolled: 4-line block ×3, first 2 shown]
	v_fma_f64 v[139:140], v[36:37], s[28:29], -v[121:122]
	v_fma_f64 v[121:122], v[36:37], s[28:29], v[121:122]
	v_add_f64 v[34:35], v[85:86], v[34:35]
	v_add_f64 v[32:33], v[87:88], v[32:33]
	v_mul_f64 v[85:86], v[89:90], s[4:5]
	v_mul_f64 v[87:88], v[50:51], s[30:31]
	v_mul_f64 v[105:106], v[48:49], s[30:31]
	v_mul_f64 v[93:94], v[42:43], s[30:31]
	v_add_f64 v[44:45], v[44:45], v[8:9]
	v_mul_f64 v[141:142], v[74:75], s[12:13]
	v_add_f64 v[127:128], v[14:15], v[127:128]
	v_add_f64 v[101:102], v[14:15], v[101:102]
	;; [unrolled: 1-line block ×16, first 2 shown]
	v_mul_f64 v[30:31], v[66:67], s[30:31]
	v_mul_f64 v[28:29], v[64:65], s[30:31]
	s_mov_b32 s31, 0xbfddbe06
	v_mul_f64 v[143:144], v[72:73], s[12:13]
	s_mov_b32 s35, 0x3fcea1e5
	s_mov_b32 s34, s4
	v_mad_u32_u24 v53, 0xc0, v52, v84
	v_add_f64 v[26:27], v[34:35], v[26:27]
	v_add_f64 v[24:25], v[32:33], v[24:25]
	v_mul_f64 v[32:33], v[89:90], s[30:31]
	v_mul_f64 v[34:35], v[38:39], s[30:31]
	v_fma_f64 v[38:39], v[91:92], s[20:21], v[85:86]
	v_fma_f64 v[85:86], v[91:92], s[20:21], -v[85:86]
	v_fma_f64 v[89:90], v[91:92], s[22:23], v[95:96]
	v_fma_f64 v[95:96], v[91:92], s[22:23], -v[95:96]
	s_mov_b32 s31, 0x3fe5384d
	s_mov_b32 s30, s6
	v_add_f64 v[22:23], v[26:27], v[22:23]
	v_add_f64 v[20:21], v[24:25], v[20:21]
	v_fma_f64 v[24:25], v[36:37], s[24:25], -v[123:124]
	v_fma_f64 v[26:27], v[36:37], s[24:25], v[123:124]
	v_fma_f64 v[123:124], v[91:92], s[0:1], v[32:33]
	v_fma_f64 v[32:33], v[91:92], s[0:1], -v[32:33]
	v_fma_f64 v[91:92], v[36:37], s[0:1], -v[34:35]
	v_fma_f64 v[34:35], v[36:37], s[0:1], v[34:35]
	v_fma_f64 v[36:37], v[46:47], s[0:1], v[87:88]
	v_add_f64 v[38:39], v[14:15], v[38:39]
	v_add_f64 v[85:86], v[14:15], v[85:86]
	;; [unrolled: 1-line block ×12, first 2 shown]
	v_mul_f64 v[32:33], v[48:49], s[6:7]
	v_fma_f64 v[34:35], v[40:41], s[0:1], -v[93:94]
	v_add_f64 v[36:37], v[36:37], v[38:39]
	v_fma_f64 v[38:39], v[76:77], s[22:23], v[125:126]
	v_mul_f64 v[20:21], v[80:81], s[10:11]
	v_mul_f64 v[22:23], v[78:79], s[10:11]
	v_fma_f64 v[125:126], v[76:77], s[22:23], -v[125:126]
	v_add_f64 v[18:19], v[18:19], v[10:11]
	v_add_f64 v[16:17], v[16:17], v[8:9]
	;; [unrolled: 1-line block ×3, first 2 shown]
	v_fma_f64 v[129:130], v[44:45], s[22:23], -v[32:33]
	v_add_f64 v[36:37], v[38:39], v[36:37]
	v_fma_f64 v[38:39], v[70:71], s[24:25], v[20:21]
	v_fma_f64 v[10:11], v[68:69], s[24:25], -v[22:23]
	v_fma_f64 v[32:33], v[44:45], s[22:23], v[32:33]
	v_fma_f64 v[20:21], v[70:71], s[24:25], -v[20:21]
	v_fma_f64 v[22:23], v[68:69], s[24:25], v[22:23]
	v_add_f64 v[6:7], v[18:19], v[6:7]
	v_add_f64 v[4:5], v[16:17], v[4:5]
	v_mul_f64 v[16:17], v[50:51], s[14:15]
	v_fma_f64 v[18:19], v[40:41], s[0:1], v[93:94]
	v_add_f64 v[8:9], v[129:130], v[34:35]
	v_mul_f64 v[129:130], v[48:49], s[16:17]
	v_add_f64 v[34:35], v[38:39], v[36:37]
	v_fma_f64 v[36:37], v[62:63], s[26:27], v[141:142]
	v_add_f64 v[2:3], v[6:7], v[2:3]
	v_add_f64 v[0:1], v[4:5], v[0:1]
	v_fma_f64 v[4:5], v[62:63], s[0:1], -v[97:98]
	v_add_f64 v[18:19], v[18:19], v[109:110]
	v_mul_f64 v[109:110], v[42:43], s[30:31]
	v_add_f64 v[8:9], v[10:11], v[8:9]
	v_fma_f64 v[10:11], v[60:61], s[26:27], -v[143:144]
	v_add_f64 v[34:35], v[36:37], v[34:35]
	v_mul_f64 v[36:37], v[66:67], s[14:15]
	v_add_f64 v[18:19], v[32:33], v[18:19]
	v_fma_f64 v[32:33], v[44:45], s[24:25], -v[129:130]
	v_fma_f64 v[129:130], v[44:45], s[24:25], v[129:130]
	v_add_f64 v[8:9], v[10:11], v[8:9]
	v_fma_f64 v[10:11], v[58:59], s[28:29], v[36:37]
	v_fma_f64 v[36:37], v[58:59], s[28:29], -v[36:37]
	v_add_f64 v[18:19], v[22:23], v[18:19]
	v_fma_f64 v[22:23], v[62:63], s[26:27], -v[141:142]
	v_add_f64 v[10:11], v[10:11], v[34:35]
	v_mul_f64 v[34:35], v[64:65], s[14:15]
	v_fma_f64 v[38:39], v[56:57], s[28:29], -v[34:35]
	v_fma_f64 v[34:35], v[56:57], s[28:29], v[34:35]
	v_add_f64 v[8:9], v[38:39], v[8:9]
	v_fma_f64 v[38:39], v[46:47], s[0:1], -v[87:88]
	v_mul_f64 v[87:88], v[42:43], s[14:15]
	v_add_f64 v[38:39], v[38:39], v[85:86]
	v_fma_f64 v[85:86], v[46:47], s[28:29], v[16:17]
	v_fma_f64 v[16:17], v[46:47], s[28:29], -v[16:17]
	v_fma_f64 v[93:94], v[40:41], s[28:29], -v[87:88]
	v_fma_f64 v[87:88], v[40:41], s[28:29], v[87:88]
	v_add_f64 v[38:39], v[125:126], v[38:39]
	v_add_f64 v[85:86], v[85:86], v[89:90]
	v_mul_f64 v[89:90], v[50:51], s[30:31]
	v_add_f64 v[16:17], v[16:17], v[95:96]
	v_add_f64 v[93:94], v[93:94], v[133:134]
	;; [unrolled: 1-line block ×3, first 2 shown]
	v_fma_f64 v[115:116], v[40:41], s[22:23], -v[109:110]
	v_mul_f64 v[133:134], v[80:81], s[18:19]
	v_fma_f64 v[109:110], v[40:41], s[22:23], v[109:110]
	v_add_f64 v[20:21], v[20:21], v[38:39]
	v_fma_f64 v[95:96], v[46:47], s[22:23], v[89:90]
	v_fma_f64 v[89:90], v[46:47], s[22:23], -v[89:90]
	v_add_f64 v[32:33], v[32:33], v[93:94]
	v_fma_f64 v[93:94], v[76:77], s[0:1], v[103:104]
	v_add_f64 v[115:116], v[115:116], v[137:138]
	v_add_f64 v[87:88], v[129:130], v[87:88]
	v_fma_f64 v[137:138], v[60:61], s[26:27], v[143:144]
	v_add_f64 v[109:110], v[109:110], v[119:120]
	;; [unrolled: 3-line block ×3, first 2 shown]
	v_mul_f64 v[127:128], v[82:83], s[16:17]
	v_add_f64 v[89:90], v[89:90], v[101:102]
	v_fma_f64 v[101:102], v[76:77], s[0:1], -v[103:104]
	v_mul_f64 v[103:104], v[72:73], s[34:35]
	v_fma_f64 v[133:134], v[70:71], s[28:29], -v[133:134]
	v_add_f64 v[18:19], v[137:138], v[18:19]
	v_add_f64 v[93:94], v[93:94], v[95:96]
	v_fma_f64 v[125:126], v[76:77], s[24:25], v[127:128]
	v_fma_f64 v[127:128], v[76:77], s[24:25], -v[127:128]
	v_fma_f64 v[95:96], v[44:45], s[0:1], -v[105:106]
	v_add_f64 v[89:90], v[101:102], v[89:90]
	v_fma_f64 v[101:102], v[60:61], s[20:21], -v[103:104]
	v_fma_f64 v[105:106], v[44:45], s[0:1], v[105:106]
	v_fma_f64 v[103:104], v[60:61], s[20:21], v[103:104]
	v_add_f64 v[22:23], v[22:23], v[93:94]
	v_add_f64 v[85:86], v[125:126], v[85:86]
	v_mul_f64 v[125:126], v[80:81], s[34:35]
	v_add_f64 v[16:17], v[127:128], v[16:17]
	v_mul_f64 v[127:128], v[78:79], s[34:35]
	;; [unrolled: 2-line block ×4, first 2 shown]
	v_fma_f64 v[129:130], v[70:71], s[20:21], v[125:126]
	v_fma_f64 v[125:126], v[70:71], s[20:21], -v[125:126]
	v_fma_f64 v[38:39], v[68:69], s[20:21], -v[127:128]
	v_fma_f64 v[127:128], v[68:69], s[20:21], v[127:128]
	v_fma_f64 v[6:7], v[68:69], s[28:29], -v[115:116]
	v_add_f64 v[85:86], v[129:130], v[85:86]
	v_fma_f64 v[129:130], v[62:63], s[0:1], v[97:98]
	v_add_f64 v[32:33], v[38:39], v[32:33]
	v_mul_f64 v[38:39], v[50:51], s[4:5]
	v_add_f64 v[16:17], v[125:126], v[16:17]
	v_mul_f64 v[125:126], v[74:75], s[34:35]
	v_add_f64 v[87:88], v[127:128], v[87:88]
	v_fma_f64 v[127:128], v[60:61], s[0:1], -v[99:100]
	s_mov_b32 s35, 0x3fedeba7
	s_mov_b32 s34, s12
	v_mul_f64 v[97:98], v[42:43], s[4:5]
	v_mul_f64 v[137:138], v[82:83], s[34:35]
	v_fma_f64 v[99:100], v[60:61], s[0:1], v[99:100]
	v_add_f64 v[85:86], v[129:130], v[85:86]
	v_fma_f64 v[129:130], v[46:47], s[20:21], v[38:39]
	v_fma_f64 v[38:39], v[46:47], s[20:21], -v[38:39]
	v_fma_f64 v[93:94], v[62:63], s[20:21], v[125:126]
	v_add_f64 v[16:17], v[4:5], v[16:17]
	v_add_f64 v[32:33], v[127:128], v[32:33]
	v_mul_f64 v[127:128], v[50:51], s[12:13]
	v_add_f64 v[4:5], v[6:7], v[95:96]
	v_fma_f64 v[6:7], v[40:41], s[20:21], -v[97:98]
	v_mul_f64 v[95:96], v[48:49], s[34:35]
	v_fma_f64 v[97:98], v[40:41], s[20:21], v[97:98]
	v_add_f64 v[87:88], v[99:100], v[87:88]
	v_mul_f64 v[99:100], v[82:83], s[4:5]
	v_mul_f64 v[50:51], v[50:51], s[16:17]
	v_mul_f64 v[82:83], v[82:83], s[18:19]
	v_add_f64 v[119:120], v[129:130], v[131:132]
	v_fma_f64 v[129:130], v[76:77], s[26:27], v[137:138]
	v_mul_f64 v[131:132], v[42:43], s[12:13]
	v_add_f64 v[93:94], v[93:94], v[22:23]
	v_add_f64 v[38:39], v[38:39], v[107:108]
	v_fma_f64 v[22:23], v[46:47], s[26:27], v[127:128]
	v_fma_f64 v[107:108], v[76:77], s[26:27], -v[137:138]
	v_add_f64 v[6:7], v[6:7], v[139:140]
	v_fma_f64 v[139:140], v[44:45], s[26:27], -v[95:96]
	v_add_f64 v[101:102], v[101:102], v[4:5]
	v_add_f64 v[4:5], v[105:106], v[109:110]
	v_fma_f64 v[105:106], v[68:69], s[28:29], v[115:116]
	v_add_f64 v[97:98], v[97:98], v[121:122]
	v_fma_f64 v[95:96], v[44:45], s[26:27], v[95:96]
	v_mul_f64 v[42:43], v[42:43], s[16:17]
	v_fma_f64 v[121:122], v[62:63], s[20:21], -v[125:126]
	v_fma_f64 v[125:126], v[76:77], s[20:21], v[99:100]
	v_fma_f64 v[127:128], v[46:47], s[26:27], -v[127:128]
	v_fma_f64 v[137:138], v[68:69], s[0:1], -v[113:114]
	v_fma_f64 v[99:100], v[76:77], s[20:21], -v[99:100]
	v_fma_f64 v[113:114], v[68:69], s[0:1], v[113:114]
	v_add_f64 v[109:110], v[129:130], v[119:120]
	v_fma_f64 v[115:116], v[40:41], s[26:27], -v[131:132]
	v_mul_f64 v[119:120], v[48:49], s[4:5]
	v_fma_f64 v[129:130], v[70:71], s[0:1], v[111:112]
	v_add_f64 v[22:23], v[22:23], v[135:136]
	v_mul_f64 v[135:136], v[80:81], s[30:31]
	v_add_f64 v[38:39], v[107:108], v[38:39]
	v_fma_f64 v[107:108], v[70:71], s[0:1], -v[111:112]
	v_fma_f64 v[111:112], v[40:41], s[26:27], v[131:132]
	v_mul_f64 v[131:132], v[78:79], s[30:31]
	v_add_f64 v[4:5], v[105:106], v[4:5]
	v_mul_f64 v[48:49], v[48:49], s[18:19]
	v_add_f64 v[95:96], v[95:96], v[97:98]
	v_fma_f64 v[97:98], v[40:41], s[24:25], v[42:43]
	v_add_f64 v[6:7], v[139:140], v[6:7]
	v_mul_f64 v[139:140], v[72:73], s[16:17]
	v_add_f64 v[117:118], v[127:128], v[117:118]
	v_mul_f64 v[127:128], v[74:75], s[14:15]
	v_fma_f64 v[40:41], v[40:41], s[24:25], -v[42:43]
	v_fma_f64 v[42:43], v[76:77], s[28:29], -v[82:83]
	v_mul_f64 v[80:81], v[80:81], s[12:13]
	v_mul_f64 v[78:79], v[78:79], s[12:13]
	v_mul_f64 v[74:75], v[74:75], s[6:7]
	v_add_f64 v[24:25], v[115:116], v[24:25]
	v_fma_f64 v[105:106], v[44:45], s[20:21], -v[119:120]
	v_fma_f64 v[115:116], v[46:47], s[24:25], -v[50:51]
	v_add_f64 v[22:23], v[125:126], v[22:23]
	v_fma_f64 v[125:126], v[70:71], s[22:23], v[135:136]
	v_fma_f64 v[46:47], v[46:47], s[24:25], v[50:51]
	;; [unrolled: 1-line block ×3, first 2 shown]
	v_add_f64 v[26:27], v[111:112], v[26:27]
	v_mul_f64 v[111:112], v[72:73], s[14:15]
	v_add_f64 v[103:104], v[103:104], v[4:5]
	v_fma_f64 v[4:5], v[76:77], s[28:29], v[82:83]
	v_mul_f64 v[72:73], v[72:73], s[6:7]
	v_add_f64 v[12:13], v[97:98], v[12:13]
	v_fma_f64 v[97:98], v[44:45], s[28:29], v[48:49]
	v_add_f64 v[6:7], v[137:138], v[6:7]
	v_fma_f64 v[137:138], v[60:61], s[24:25], -v[139:140]
	v_add_f64 v[99:100], v[99:100], v[117:118]
	v_fma_f64 v[117:118], v[70:71], s[22:23], -v[135:136]
	v_fma_f64 v[44:45], v[44:45], s[28:29], -v[48:49]
	v_add_f64 v[40:41], v[40:41], v[91:92]
	v_fma_f64 v[82:83], v[68:69], s[26:27], v[78:79]
	v_add_f64 v[38:39], v[107:108], v[38:39]
	v_fma_f64 v[107:108], v[62:63], s[24:25], -v[133:134]
	v_add_f64 v[24:25], v[105:106], v[24:25]
	v_add_f64 v[14:15], v[115:116], v[14:15]
	v_fma_f64 v[105:106], v[68:69], s[22:23], -v[131:132]
	v_add_f64 v[22:23], v[125:126], v[22:23]
	v_fma_f64 v[115:116], v[62:63], s[28:29], v[127:128]
	v_add_f64 v[46:47], v[46:47], v[123:124]
	v_add_f64 v[26:27], v[50:51], v[26:27]
	v_fma_f64 v[50:51], v[68:69], s[22:23], v[131:132]
	v_fma_f64 v[76:77], v[60:61], s[28:29], -v[111:112]
	v_add_f64 v[109:110], v[129:130], v[109:110]
	v_fma_f64 v[129:130], v[62:63], s[24:25], v[133:134]
	v_add_f64 v[95:96], v[113:114], v[95:96]
	v_add_f64 v[12:13], v[97:98], v[12:13]
	v_fma_f64 v[113:114], v[60:61], s[24:25], v[139:140]
	v_add_f64 v[91:92], v[137:138], v[6:7]
	v_add_f64 v[89:90], v[121:122], v[89:90]
	;; [unrolled: 1-line block ×3, first 2 shown]
	v_mul_f64 v[99:100], v[64:65], s[4:5]
	v_add_f64 v[40:41], v[44:45], v[40:41]
	v_mul_f64 v[44:45], v[66:67], s[10:11]
	v_fma_f64 v[117:118], v[56:57], s[0:1], -v[28:29]
	v_add_f64 v[38:39], v[107:108], v[38:39]
	v_add_f64 v[14:15], v[42:43], v[14:15]
	v_fma_f64 v[42:43], v[70:71], s[26:27], -v[80:81]
	v_add_f64 v[24:25], v[105:106], v[24:25]
	v_add_f64 v[97:98], v[115:116], v[22:23]
	v_fma_f64 v[22:23], v[62:63], s[28:29], -v[127:128]
	v_fma_f64 v[70:71], v[70:71], s[26:27], v[80:81]
	v_add_f64 v[4:5], v[4:5], v[46:47]
	v_add_f64 v[26:27], v[50:51], v[26:27]
	v_fma_f64 v[50:51], v[68:69], s[26:27], -v[78:79]
	v_mul_f64 v[80:81], v[66:67], s[12:13]
	v_mul_f64 v[46:47], v[64:65], s[12:13]
	v_add_f64 v[12:13], v[82:83], v[12:13]
	v_fma_f64 v[82:83], v[60:61], s[22:23], v[72:73]
	v_fma_f64 v[68:69], v[60:61], s[28:29], v[111:112]
	v_mul_f64 v[78:79], v[64:65], s[10:11]
	v_mul_f64 v[64:65], v[64:65], s[6:7]
	v_fma_f64 v[60:61], v[60:61], s[22:23], -v[72:73]
	v_fma_f64 v[107:108], v[56:57], s[20:21], v[99:100]
	v_add_f64 v[48:49], v[129:130], v[109:110]
	v_fma_f64 v[109:110], v[56:57], s[0:1], v[28:29]
	v_add_f64 v[95:96], v[113:114], v[95:96]
	;; [unrolled: 2-line block ×3, first 2 shown]
	v_fma_f64 v[42:43], v[62:63], s[22:23], -v[74:75]
	v_add_f64 v[76:77], v[76:77], v[24:25]
	v_mul_f64 v[24:25], v[66:67], s[6:7]
	v_mul_f64 v[66:67], v[66:67], s[4:5]
	v_add_f64 v[105:106], v[22:23], v[6:7]
	v_fma_f64 v[6:7], v[62:63], s[22:23], v[74:75]
	v_add_f64 v[4:5], v[70:71], v[4:5]
	v_add_f64 v[40:41], v[50:51], v[40:41]
	v_fma_f64 v[22:23], v[58:59], s[26:27], v[80:81]
	v_fma_f64 v[62:63], v[56:57], s[26:27], -v[46:47]
	v_fma_f64 v[70:71], v[58:59], s[26:27], -v[80:81]
	v_add_f64 v[80:81], v[82:83], v[12:13]
	v_add_f64 v[50:51], v[68:69], v[26:27]
	v_fma_f64 v[74:75], v[58:59], s[0:1], -v[30:31]
	v_fma_f64 v[68:69], v[58:59], s[24:25], v[44:45]
	v_fma_f64 v[26:27], v[58:59], s[24:25], -v[44:45]
	v_fma_f64 v[111:112], v[56:57], s[22:23], v[64:65]
	;; [unrolled: 2-line block ×3, first 2 shown]
	v_fma_f64 v[46:47], v[56:57], s[26:27], v[46:47]
	v_fma_f64 v[64:65], v[56:57], s[22:23], -v[64:65]
	v_fma_f64 v[56:57], v[56:57], s[20:21], -v[99:100]
	v_add_f64 v[42:43], v[42:43], v[14:15]
	v_fma_f64 v[44:45], v[58:59], s[22:23], -v[24:25]
	v_fma_f64 v[82:83], v[58:59], s[20:21], -v[66:67]
	v_fma_f64 v[113:114], v[58:59], s[22:23], v[24:25]
	v_fma_f64 v[58:59], v[58:59], s[20:21], v[66:67]
	v_add_f64 v[66:67], v[6:7], v[4:5]
	v_add_f64 v[60:61], v[60:61], v[40:41]
	;; [unrolled: 1-line block ×24, first 2 shown]
	ds_write_b128 v53, v[0:3]
	ds_write_b128 v53, v[32:35] offset:16
	ds_write_b128 v53, v[28:31] offset:32
	;; [unrolled: 1-line block ×12, first 2 shown]
.LBB0_19:
	s_or_b32 exec_lo, exec_lo, s33
	v_add_nc_u32_e32 v2, 0x75, v52
	v_and_b32_e32 v41, 0xff, v52
	v_mov_b32_e32 v45, 5
	s_waitcnt lgkmcnt(0)
	s_barrier
	v_and_b32_e32 v0, 0xff, v2
	v_mul_lo_u16 v1, 0x4f, v41
	buffer_gl0_inv
	s_mov_b32 s4, 0xe8584caa
	s_mov_b32 s5, 0xbfebb67a
	v_mul_lo_u16 v0, 0x4f, v0
	v_lshrrev_b16 v43, 10, v1
	s_mov_b32 s7, 0x3febb67a
	s_mov_b32 s6, s4
	v_lshrrev_b16 v44, 10, v0
	v_mul_lo_u16 v0, v43, 13
	v_mul_lo_u16 v1, v44, 13
	v_sub_nc_u16 v46, v52, v0
	v_sub_nc_u16 v47, v2, v1
	v_lshlrev_b32_sdwa v0, v45, v46 dst_sel:DWORD dst_unused:UNUSED_PAD src0_sel:DWORD src1_sel:BYTE_0
	v_lshlrev_b32_sdwa v1, v45, v47 dst_sel:DWORD dst_unused:UNUSED_PAD src0_sel:DWORD src1_sel:BYTE_0
	s_clause 0x3
	global_load_dwordx4 v[3:6], v0, s[8:9]
	global_load_dwordx4 v[7:10], v0, s[8:9] offset:16
	global_load_dwordx4 v[11:14], v1, s[8:9]
	global_load_dwordx4 v[15:18], v1, s[8:9] offset:16
	ds_read_b128 v[19:22], v84 offset:3744
	ds_read_b128 v[23:26], v84 offset:7488
	;; [unrolled: 1-line block ×4, first 2 shown]
	s_waitcnt vmcnt(3) lgkmcnt(3)
	v_mul_f64 v[0:1], v[21:22], v[5:6]
	s_waitcnt vmcnt(2) lgkmcnt(2)
	v_mul_f64 v[35:36], v[25:26], v[9:10]
	v_mul_f64 v[5:6], v[19:20], v[5:6]
	;; [unrolled: 1-line block ×3, first 2 shown]
	s_waitcnt vmcnt(1) lgkmcnt(1)
	v_mul_f64 v[37:38], v[29:30], v[13:14]
	s_waitcnt vmcnt(0) lgkmcnt(0)
	v_mul_f64 v[39:40], v[33:34], v[17:18]
	v_mul_f64 v[13:14], v[27:28], v[13:14]
	;; [unrolled: 1-line block ×3, first 2 shown]
	v_fma_f64 v[0:1], v[19:20], v[3:4], v[0:1]
	v_fma_f64 v[19:20], v[23:24], v[7:8], v[35:36]
	v_fma_f64 v[21:22], v[21:22], v[3:4], -v[5:6]
	v_fma_f64 v[23:24], v[25:26], v[7:8], -v[9:10]
	v_fma_f64 v[25:26], v[27:28], v[11:12], v[37:38]
	v_fma_f64 v[27:28], v[31:32], v[15:16], v[39:40]
	v_fma_f64 v[11:12], v[29:30], v[11:12], -v[13:14]
	v_fma_f64 v[13:14], v[33:34], v[15:16], -v[17:18]
	v_mul_lo_u16 v15, 0xa5, v41
	ds_read_b128 v[3:6], v84
	ds_read_b128 v[7:10], v84 offset:1872
	s_waitcnt lgkmcnt(0)
	s_barrier
	buffer_gl0_inv
	v_lshrrev_b16 v48, 8, v15
	v_sub_nc_u16 v33, v52, v48
	v_lshrrev_b16 v33, 1, v33
	v_add_f64 v[15:16], v[0:1], v[19:20]
	v_add_f64 v[17:18], v[21:22], v[23:24]
	v_add_f64 v[35:36], v[21:22], -v[23:24]
	v_add_f64 v[29:30], v[25:26], v[27:28]
	v_and_b32_e32 v49, 0x7f, v33
	v_add_f64 v[31:32], v[11:12], v[13:14]
	v_add_f64 v[33:34], v[3:4], v[0:1]
	;; [unrolled: 1-line block ×4, first 2 shown]
	v_add_f64 v[0:1], v[0:1], -v[19:20]
	v_add_f64 v[37:38], v[7:8], v[25:26]
	v_add_f64 v[41:42], v[11:12], -v[13:14]
	v_add_f64 v[25:26], v[25:26], -v[27:28]
	v_fma_f64 v[15:16], v[15:16], -0.5, v[3:4]
	v_fma_f64 v[17:18], v[17:18], -0.5, v[5:6]
	v_add_nc_u16 v3, v49, v48
	v_fma_f64 v[29:30], v[29:30], -0.5, v[7:8]
	v_mov_b32_e32 v48, 0x270
	v_fma_f64 v[31:32], v[31:32], -0.5, v[9:10]
	v_mov_b32_e32 v49, 4
	v_lshrrev_b16 v3, 5, v3
	v_add_f64 v[5:6], v[21:22], v[23:24]
	v_add_f64 v[9:10], v[39:40], v[13:14]
	;; [unrolled: 1-line block ×3, first 2 shown]
	v_lshlrev_b32_sdwa v27, v49, v46 dst_sel:DWORD dst_unused:UNUSED_PAD src0_sel:DWORD src1_sel:BYTE_0
	v_and_b32_e32 v50, 7, v3
	v_add_f64 v[3:4], v[33:34], v[19:20]
	v_fma_f64 v[11:12], v[35:36], s[4:5], v[15:16]
	v_fma_f64 v[13:14], v[0:1], s[6:7], v[17:18]
	;; [unrolled: 1-line block ×4, first 2 shown]
	v_mul_lo_u16 v0, v50, 39
	v_fma_f64 v[19:20], v[41:42], s[4:5], v[29:30]
	v_fma_f64 v[21:22], v[25:26], s[6:7], v[31:32]
	v_fma_f64 v[23:24], v[41:42], s[6:7], v[29:30]
	v_fma_f64 v[25:26], v[25:26], s[4:5], v[31:32]
	v_mul_u32_u24_sdwa v1, v43, v48 dst_sel:DWORD dst_unused:UNUSED_PAD src0_sel:WORD_0 src1_sel:DWORD
	v_sub_nc_u16 v51, v52, v0
	v_mul_u32_u24_sdwa v0, v44, v48 dst_sel:DWORD dst_unused:UNUSED_PAD src0_sel:WORD_0 src1_sel:DWORD
	v_add3_u32 v1, 0, v1, v27
	v_lshlrev_b32_sdwa v27, v49, v47 dst_sel:DWORD dst_unused:UNUSED_PAD src0_sel:DWORD src1_sel:BYTE_0
	v_mul_u32_u24_sdwa v28, v51, v45 dst_sel:DWORD dst_unused:UNUSED_PAD src0_sel:BYTE_0 src1_sel:DWORD
	v_add3_u32 v0, 0, v0, v27
	v_lshlrev_b32_e32 v27, 4, v28
	ds_write_b128 v1, v[3:6]
	ds_write_b128 v1, v[11:14] offset:208
	ds_write_b128 v1, v[15:18] offset:416
	ds_write_b128 v0, v[7:10]
	ds_write_b128 v0, v[19:22] offset:208
	ds_write_b128 v0, v[23:26] offset:416
	s_waitcnt lgkmcnt(0)
	s_barrier
	buffer_gl0_inv
	s_clause 0x4
	global_load_dwordx4 v[3:6], v27, s[8:9] offset:448
	global_load_dwordx4 v[7:10], v27, s[8:9] offset:480
	global_load_dwordx4 v[11:14], v27, s[8:9] offset:416
	global_load_dwordx4 v[15:18], v27, s[8:9] offset:432
	global_load_dwordx4 v[19:22], v27, s[8:9] offset:464
	ds_read_b128 v[23:26], v84 offset:5616
	ds_read_b128 v[27:30], v84 offset:9360
	;; [unrolled: 1-line block ×5, first 2 shown]
	s_waitcnt vmcnt(4) lgkmcnt(4)
	v_mul_f64 v[0:1], v[23:24], v[5:6]
	s_waitcnt vmcnt(3) lgkmcnt(3)
	v_mul_f64 v[43:44], v[27:28], v[9:10]
	;; [unrolled: 2-line block ×3, first 2 shown]
	v_mul_f64 v[5:6], v[25:26], v[5:6]
	v_mul_f64 v[9:10], v[29:30], v[9:10]
	;; [unrolled: 1-line block ×3, first 2 shown]
	v_fma_f64 v[0:1], v[25:26], v[3:4], -v[0:1]
	v_fma_f64 v[25:26], v[29:30], v[7:8], -v[43:44]
	s_waitcnt vmcnt(1) lgkmcnt(1)
	v_mul_f64 v[29:30], v[37:38], v[17:18]
	v_mul_f64 v[17:18], v[35:36], v[17:18]
	s_waitcnt vmcnt(0) lgkmcnt(0)
	v_mul_f64 v[43:44], v[41:42], v[21:22]
	v_mul_f64 v[21:22], v[39:40], v[21:22]
	v_fma_f64 v[23:24], v[23:24], v[3:4], v[5:6]
	v_fma_f64 v[7:8], v[27:28], v[7:8], v[9:10]
	v_fma_f64 v[9:10], v[33:34], v[11:12], -v[45:46]
	v_fma_f64 v[11:12], v[31:32], v[11:12], v[13:14]
	v_mov_b32_e32 v45, 0xea0
	v_add_f64 v[3:4], v[0:1], v[25:26]
	v_fma_f64 v[27:28], v[35:36], v[15:16], v[29:30]
	v_fma_f64 v[15:16], v[37:38], v[15:16], -v[17:18]
	v_fma_f64 v[17:18], v[39:40], v[19:20], v[43:44]
	v_fma_f64 v[19:20], v[41:42], v[19:20], -v[21:22]
	v_add_f64 v[35:36], v[0:1], -v[25:26]
	v_add_f64 v[13:14], v[23:24], v[7:8]
	v_add_f64 v[21:22], v[23:24], -v[7:8]
	v_fma_f64 v[29:30], v[3:4], -0.5, v[9:10]
	ds_read_b128 v[3:6], v84
	v_add_f64 v[9:10], v[9:10], v[0:1]
	v_add_f64 v[31:32], v[27:28], v[17:18]
	;; [unrolled: 1-line block ×3, first 2 shown]
	v_add_f64 v[39:40], v[15:16], -v[19:20]
	v_fma_f64 v[13:14], v[13:14], -0.5, v[11:12]
	v_add_f64 v[11:12], v[11:12], v[23:24]
	v_lshlrev_b32_e32 v0, 1, v52
	v_mov_b32_e32 v1, 0
	s_waitcnt lgkmcnt(0)
	s_barrier
	buffer_gl0_inv
	v_add_f64 v[15:16], v[5:6], v[15:16]
	v_fma_f64 v[37:38], v[21:22], s[6:7], v[29:30]
	v_fma_f64 v[21:22], v[21:22], s[4:5], v[29:30]
	v_add_f64 v[29:30], v[3:4], v[27:28]
	v_add_f64 v[27:28], v[27:28], -v[17:18]
	v_fma_f64 v[3:4], v[31:32], -0.5, v[3:4]
	v_fma_f64 v[5:6], v[33:34], -0.5, v[5:6]
	v_fma_f64 v[23:24], v[35:36], s[4:5], v[13:14]
	v_fma_f64 v[13:14], v[35:36], s[6:7], v[13:14]
	v_add_f64 v[7:8], v[11:12], v[7:8]
	v_add_f64 v[9:10], v[9:10], v[25:26]
	;; [unrolled: 1-line block ×3, first 2 shown]
	v_mul_f64 v[31:32], v[37:38], s[4:5]
	v_mul_f64 v[35:36], v[37:38], 0.5
	v_mul_f64 v[33:34], v[21:22], s[4:5]
	v_mul_f64 v[21:22], v[21:22], -0.5
	v_add_f64 v[17:18], v[29:30], v[17:18]
	v_fma_f64 v[19:20], v[39:40], s[4:5], v[3:4]
	v_fma_f64 v[29:30], v[27:28], s[6:7], v[5:6]
	;; [unrolled: 1-line block ×4, first 2 shown]
	v_lshlrev_b64 v[37:38], 4, v[0:1]
	v_lshlrev_b32_e32 v0, 1, v2
	v_add_co_u32 v2, s0, s8, v37
	v_add_co_ci_u32_e64 v3, s0, s9, v38, s0
	v_lshlrev_b64 v[37:38], 4, v[0:1]
	v_add_co_u32 v41, s0, 0xdd0, v2
	v_fma_f64 v[31:32], v[23:24], 0.5, v[31:32]
	v_fma_f64 v[35:36], v[23:24], s[6:7], v[35:36]
	v_fma_f64 v[33:34], v[13:14], -0.5, v[33:34]
	v_fma_f64 v[39:40], v[13:14], s[6:7], v[21:22]
	v_add_co_ci_u32_e64 v42, s0, 0, v3, s0
	v_add_co_u32 v43, s0, 0x800, v2
	v_add_co_ci_u32_e64 v44, s0, 0, v3, s0
	v_add_f64 v[2:3], v[17:18], v[7:8]
	v_add_f64 v[4:5], v[15:16], v[9:10]
	v_add_f64 v[6:7], v[17:18], -v[7:8]
	v_add_f64 v[8:9], v[15:16], -v[9:10]
	v_add_co_u32 v0, s0, s8, v37
	v_add_f64 v[10:11], v[19:20], v[31:32]
	v_add_f64 v[12:13], v[29:30], v[35:36]
	;; [unrolled: 1-line block ×4, first 2 shown]
	v_add_f64 v[18:19], v[19:20], -v[31:32]
	v_add_f64 v[20:21], v[29:30], -v[35:36]
	;; [unrolled: 1-line block ×4, first 2 shown]
	v_add_co_ci_u32_e64 v29, s0, s9, v38, s0
	v_mul_u32_u24_sdwa v28, v50, v45 dst_sel:DWORD dst_unused:UNUSED_PAD src0_sel:WORD_0 src1_sel:DWORD
	v_lshlrev_b32_sdwa v30, v49, v51 dst_sel:DWORD dst_unused:UNUSED_PAD src0_sel:DWORD src1_sel:BYTE_0
	v_add_co_u32 v26, s0, 0xdd0, v0
	v_add_co_ci_u32_e64 v27, s0, 0, v29, s0
	v_add3_u32 v30, 0, v28, v30
	v_add_co_u32 v28, s0, 0x800, v0
	v_add_co_ci_u32_e64 v29, s0, 0, v29, s0
	ds_write_b128 v30, v[2:5]
	ds_write_b128 v30, v[6:9] offset:1872
	ds_write_b128 v30, v[10:13] offset:624
	;; [unrolled: 1-line block ×5, first 2 shown]
	s_waitcnt lgkmcnt(0)
	s_barrier
	buffer_gl0_inv
	s_clause 0x3
	global_load_dwordx4 v[2:5], v[43:44], off offset:1488
	global_load_dwordx4 v[6:9], v[41:42], off offset:16
	global_load_dwordx4 v[10:13], v[28:29], off offset:1488
	global_load_dwordx4 v[14:17], v[26:27], off offset:16
	ds_read_b128 v[18:21], v84 offset:3744
	ds_read_b128 v[22:25], v84 offset:7488
	;; [unrolled: 1-line block ×4, first 2 shown]
	s_waitcnt vmcnt(3) lgkmcnt(3)
	v_mul_f64 v[34:35], v[20:21], v[4:5]
	s_waitcnt vmcnt(2) lgkmcnt(2)
	v_mul_f64 v[36:37], v[24:25], v[8:9]
	v_mul_f64 v[4:5], v[18:19], v[4:5]
	v_mul_f64 v[8:9], v[22:23], v[8:9]
	s_waitcnt vmcnt(1) lgkmcnt(1)
	v_mul_f64 v[38:39], v[28:29], v[12:13]
	s_waitcnt vmcnt(0) lgkmcnt(0)
	v_mul_f64 v[40:41], v[32:33], v[16:17]
	v_mul_f64 v[12:13], v[26:27], v[12:13]
	;; [unrolled: 1-line block ×3, first 2 shown]
	v_fma_f64 v[18:19], v[18:19], v[2:3], v[34:35]
	v_fma_f64 v[22:23], v[22:23], v[6:7], v[36:37]
	v_fma_f64 v[20:21], v[20:21], v[2:3], -v[4:5]
	v_fma_f64 v[24:25], v[24:25], v[6:7], -v[8:9]
	v_fma_f64 v[26:27], v[26:27], v[10:11], v[38:39]
	v_fma_f64 v[30:31], v[30:31], v[14:15], v[40:41]
	v_fma_f64 v[10:11], v[28:29], v[10:11], -v[12:13]
	v_fma_f64 v[12:13], v[32:33], v[14:15], -v[16:17]
	ds_read_b128 v[2:5], v84
	ds_read_b128 v[6:9], v84 offset:1872
	s_waitcnt lgkmcnt(0)
	s_barrier
	buffer_gl0_inv
	v_add_f64 v[14:15], v[18:19], v[22:23]
	v_add_f64 v[16:17], v[20:21], v[24:25]
	v_add_f64 v[36:37], v[20:21], -v[24:25]
	v_add_f64 v[28:29], v[26:27], v[30:31]
	v_add_f64 v[34:35], v[2:3], v[18:19]
	;; [unrolled: 1-line block ×6, first 2 shown]
	v_add_f64 v[18:19], v[18:19], -v[22:23]
	v_add_f64 v[42:43], v[10:11], -v[12:13]
	;; [unrolled: 1-line block ×3, first 2 shown]
	v_fma_f64 v[14:15], v[14:15], -0.5, v[2:3]
	v_fma_f64 v[16:17], v[16:17], -0.5, v[4:5]
	;; [unrolled: 1-line block ×3, first 2 shown]
	v_add_f64 v[2:3], v[34:35], v[22:23]
	v_fma_f64 v[32:33], v[32:33], -0.5, v[8:9]
	v_add_f64 v[4:5], v[20:21], v[24:25]
	v_add_f64 v[6:7], v[38:39], v[30:31]
	;; [unrolled: 1-line block ×3, first 2 shown]
	v_fma_f64 v[10:11], v[36:37], s[4:5], v[14:15]
	v_fma_f64 v[14:15], v[36:37], s[6:7], v[14:15]
	;; [unrolled: 1-line block ×8, first 2 shown]
	ds_write_b128 v84, v[2:5]
	ds_write_b128 v84, v[6:9] offset:1872
	ds_write_b128 v84, v[10:13] offset:3744
	ds_write_b128 v84, v[14:17] offset:7488
	ds_write_b128 v84, v[18:21] offset:5616
	ds_write_b128 v84, v[22:25] offset:9360
	s_waitcnt lgkmcnt(0)
	s_barrier
	buffer_gl0_inv
	s_and_saveexec_b32 s0, vcc_lo
	s_cbranch_execz .LBB0_21
; %bb.20:
	v_lshl_add_u32 v18, v52, 4, 0
	v_mov_b32_e32 v53, v1
	v_add_nc_u32_e32 v0, 0x75, v52
	v_add_co_u32 v30, vcc_lo, s2, v54
	ds_read_b128 v[2:5], v18
	ds_read_b128 v[6:9], v18 offset:1872
	v_lshlrev_b64 v[10:11], 4, v[52:53]
	v_lshlrev_b64 v[12:13], 4, v[0:1]
	v_add_nc_u32_e32 v0, 0xea, v52
	v_add_co_ci_u32_e32 v31, vcc_lo, s3, v55, vcc_lo
	v_add_co_u32 v10, vcc_lo, v30, v10
	v_lshlrev_b64 v[14:15], 4, v[0:1]
	v_add_co_ci_u32_e32 v11, vcc_lo, v31, v11, vcc_lo
	v_add_co_u32 v22, vcc_lo, v30, v12
	v_add_nc_u32_e32 v0, 0x15f, v52
	v_add_co_ci_u32_e32 v23, vcc_lo, v31, v13, vcc_lo
	v_add_co_u32 v24, vcc_lo, v30, v14
	s_waitcnt lgkmcnt(1)
	global_store_dwordx4 v[10:11], v[2:5], off
	v_add_co_ci_u32_e32 v25, vcc_lo, v31, v15, vcc_lo
	ds_read_b128 v[2:5], v18 offset:3744
	ds_read_b128 v[10:13], v18 offset:5616
	;; [unrolled: 1-line block ×4, first 2 shown]
	v_lshlrev_b64 v[26:27], 4, v[0:1]
	v_add_nc_u32_e32 v0, 0x1d4, v52
	v_lshlrev_b64 v[28:29], 4, v[0:1]
	v_add_nc_u32_e32 v0, 0x249, v52
	v_add_co_u32 v26, vcc_lo, v30, v26
	v_add_co_ci_u32_e32 v27, vcc_lo, v31, v27, vcc_lo
	v_lshlrev_b64 v[0:1], 4, v[0:1]
	v_add_co_u32 v28, vcc_lo, v30, v28
	v_add_co_ci_u32_e32 v29, vcc_lo, v31, v29, vcc_lo
	v_add_co_u32 v0, vcc_lo, v30, v0
	v_add_co_ci_u32_e32 v1, vcc_lo, v31, v1, vcc_lo
	s_waitcnt lgkmcnt(4)
	global_store_dwordx4 v[22:23], v[6:9], off
	s_waitcnt lgkmcnt(3)
	global_store_dwordx4 v[24:25], v[2:5], off
	;; [unrolled: 2-line block ×5, first 2 shown]
.LBB0_21:
	s_endpgm
	.section	.rodata,"a",@progbits
	.p2align	6, 0x0
	.amdhsa_kernel fft_rtc_back_len702_factors_13_3_6_3_wgs_117_tpt_117_halfLds_dp_ip_CI_unitstride_sbrr_C2R_dirReg
		.amdhsa_group_segment_fixed_size 0
		.amdhsa_private_segment_fixed_size 0
		.amdhsa_kernarg_size 88
		.amdhsa_user_sgpr_count 6
		.amdhsa_user_sgpr_private_segment_buffer 1
		.amdhsa_user_sgpr_dispatch_ptr 0
		.amdhsa_user_sgpr_queue_ptr 0
		.amdhsa_user_sgpr_kernarg_segment_ptr 1
		.amdhsa_user_sgpr_dispatch_id 0
		.amdhsa_user_sgpr_flat_scratch_init 0
		.amdhsa_user_sgpr_private_segment_size 0
		.amdhsa_wavefront_size32 1
		.amdhsa_uses_dynamic_stack 0
		.amdhsa_system_sgpr_private_segment_wavefront_offset 0
		.amdhsa_system_sgpr_workgroup_id_x 1
		.amdhsa_system_sgpr_workgroup_id_y 0
		.amdhsa_system_sgpr_workgroup_id_z 0
		.amdhsa_system_sgpr_workgroup_info 0
		.amdhsa_system_vgpr_workitem_id 0
		.amdhsa_next_free_vgpr 145
		.amdhsa_next_free_sgpr 36
		.amdhsa_reserve_vcc 1
		.amdhsa_reserve_flat_scratch 0
		.amdhsa_float_round_mode_32 0
		.amdhsa_float_round_mode_16_64 0
		.amdhsa_float_denorm_mode_32 3
		.amdhsa_float_denorm_mode_16_64 3
		.amdhsa_dx10_clamp 1
		.amdhsa_ieee_mode 1
		.amdhsa_fp16_overflow 0
		.amdhsa_workgroup_processor_mode 1
		.amdhsa_memory_ordered 1
		.amdhsa_forward_progress 0
		.amdhsa_shared_vgpr_count 0
		.amdhsa_exception_fp_ieee_invalid_op 0
		.amdhsa_exception_fp_denorm_src 0
		.amdhsa_exception_fp_ieee_div_zero 0
		.amdhsa_exception_fp_ieee_overflow 0
		.amdhsa_exception_fp_ieee_underflow 0
		.amdhsa_exception_fp_ieee_inexact 0
		.amdhsa_exception_int_div_zero 0
	.end_amdhsa_kernel
	.text
.Lfunc_end0:
	.size	fft_rtc_back_len702_factors_13_3_6_3_wgs_117_tpt_117_halfLds_dp_ip_CI_unitstride_sbrr_C2R_dirReg, .Lfunc_end0-fft_rtc_back_len702_factors_13_3_6_3_wgs_117_tpt_117_halfLds_dp_ip_CI_unitstride_sbrr_C2R_dirReg
                                        ; -- End function
	.section	.AMDGPU.csdata,"",@progbits
; Kernel info:
; codeLenInByte = 8544
; NumSgprs: 38
; NumVgprs: 145
; ScratchSize: 0
; MemoryBound: 0
; FloatMode: 240
; IeeeMode: 1
; LDSByteSize: 0 bytes/workgroup (compile time only)
; SGPRBlocks: 4
; VGPRBlocks: 18
; NumSGPRsForWavesPerEU: 38
; NumVGPRsForWavesPerEU: 145
; Occupancy: 6
; WaveLimiterHint : 1
; COMPUTE_PGM_RSRC2:SCRATCH_EN: 0
; COMPUTE_PGM_RSRC2:USER_SGPR: 6
; COMPUTE_PGM_RSRC2:TRAP_HANDLER: 0
; COMPUTE_PGM_RSRC2:TGID_X_EN: 1
; COMPUTE_PGM_RSRC2:TGID_Y_EN: 0
; COMPUTE_PGM_RSRC2:TGID_Z_EN: 0
; COMPUTE_PGM_RSRC2:TIDIG_COMP_CNT: 0
	.text
	.p2alignl 6, 3214868480
	.fill 48, 4, 3214868480
	.type	__hip_cuid_106a1a6236f3aadc,@object ; @__hip_cuid_106a1a6236f3aadc
	.section	.bss,"aw",@nobits
	.globl	__hip_cuid_106a1a6236f3aadc
__hip_cuid_106a1a6236f3aadc:
	.byte	0                               ; 0x0
	.size	__hip_cuid_106a1a6236f3aadc, 1

	.ident	"AMD clang version 19.0.0git (https://github.com/RadeonOpenCompute/llvm-project roc-6.4.0 25133 c7fe45cf4b819c5991fe208aaa96edf142730f1d)"
	.section	".note.GNU-stack","",@progbits
	.addrsig
	.addrsig_sym __hip_cuid_106a1a6236f3aadc
	.amdgpu_metadata
---
amdhsa.kernels:
  - .args:
      - .actual_access:  read_only
        .address_space:  global
        .offset:         0
        .size:           8
        .value_kind:     global_buffer
      - .offset:         8
        .size:           8
        .value_kind:     by_value
      - .actual_access:  read_only
        .address_space:  global
        .offset:         16
        .size:           8
        .value_kind:     global_buffer
      - .actual_access:  read_only
        .address_space:  global
        .offset:         24
        .size:           8
        .value_kind:     global_buffer
      - .offset:         32
        .size:           8
        .value_kind:     by_value
      - .actual_access:  read_only
        .address_space:  global
        .offset:         40
        .size:           8
        .value_kind:     global_buffer
      - .actual_access:  read_only
        .address_space:  global
        .offset:         48
        .size:           8
        .value_kind:     global_buffer
      - .offset:         56
        .size:           4
        .value_kind:     by_value
      - .actual_access:  read_only
        .address_space:  global
        .offset:         64
        .size:           8
        .value_kind:     global_buffer
      - .actual_access:  read_only
        .address_space:  global
        .offset:         72
        .size:           8
        .value_kind:     global_buffer
      - .address_space:  global
        .offset:         80
        .size:           8
        .value_kind:     global_buffer
    .group_segment_fixed_size: 0
    .kernarg_segment_align: 8
    .kernarg_segment_size: 88
    .language:       OpenCL C
    .language_version:
      - 2
      - 0
    .max_flat_workgroup_size: 117
    .name:           fft_rtc_back_len702_factors_13_3_6_3_wgs_117_tpt_117_halfLds_dp_ip_CI_unitstride_sbrr_C2R_dirReg
    .private_segment_fixed_size: 0
    .sgpr_count:     38
    .sgpr_spill_count: 0
    .symbol:         fft_rtc_back_len702_factors_13_3_6_3_wgs_117_tpt_117_halfLds_dp_ip_CI_unitstride_sbrr_C2R_dirReg.kd
    .uniform_work_group_size: 1
    .uses_dynamic_stack: false
    .vgpr_count:     145
    .vgpr_spill_count: 0
    .wavefront_size: 32
    .workgroup_processor_mode: 1
amdhsa.target:   amdgcn-amd-amdhsa--gfx1030
amdhsa.version:
  - 1
  - 2
...

	.end_amdgpu_metadata
